;; amdgpu-corpus repo=ROCm/rocFFT kind=compiled arch=gfx906 opt=O3
	.text
	.amdgcn_target "amdgcn-amd-amdhsa--gfx906"
	.amdhsa_code_object_version 6
	.protected	fft_rtc_back_len100_factors_5_5_4_wgs_100_tpt_25_half_op_CI_CI_sbrc_aligned ; -- Begin function fft_rtc_back_len100_factors_5_5_4_wgs_100_tpt_25_half_op_CI_CI_sbrc_aligned
	.globl	fft_rtc_back_len100_factors_5_5_4_wgs_100_tpt_25_half_op_CI_CI_sbrc_aligned
	.p2align	8
	.type	fft_rtc_back_len100_factors_5_5_4_wgs_100_tpt_25_half_op_CI_CI_sbrc_aligned,@function
fft_rtc_back_len100_factors_5_5_4_wgs_100_tpt_25_half_op_CI_CI_sbrc_aligned: ; @fft_rtc_back_len100_factors_5_5_4_wgs_100_tpt_25_half_op_CI_CI_sbrc_aligned
; %bb.0:
	s_load_dwordx8 s[8:15], s[4:5], 0x0
	s_mov_b32 s30, 0
	s_mov_b64 s[36:37], 2
	s_waitcnt lgkmcnt(0)
	s_load_dword s0, s[12:13], 0x8
	s_load_dwordx4 s[20:23], s[4:5], 0x58
	s_load_dwordx2 s[28:29], s[4:5], 0x20
	s_load_dwordx4 s[24:27], s[14:15], 0x0
	s_mov_b32 s5, s30
	s_waitcnt lgkmcnt(0)
	s_add_i32 s0, s0, -1
	s_lshr_b32 s0, s0, 2
	s_add_i32 s33, s0, 1
	v_cvt_f32_u32_e32 v1, s33
	s_sub_i32 s2, 0, s33
	s_load_dwordx4 s[16:19], s[28:29], 0x0
	v_cmp_gt_u64_e64 s[0:1], s[10:11], 2
	v_rcp_iflag_f32_e32 v1, v1
	v_mul_f32_e32 v1, 0x4f7ffffe, v1
	v_cvt_u32_f32_e32 v1, v1
	v_readfirstlane_b32 s3, v1
	s_mul_i32 s2, s2, s3
	s_mul_hi_u32 s2, s3, s2
	s_add_i32 s3, s3, s2
	s_mul_hi_u32 s2, s6, s3
	s_mul_i32 s3, s2, s33
	s_sub_i32 s3, s6, s3
	s_add_i32 s4, s2, 1
	s_sub_i32 s7, s3, s33
	s_cmp_ge_u32 s3, s33
	s_cselect_b32 s2, s4, s2
	s_cselect_b32 s3, s7, s3
	s_add_i32 s4, s2, 1
	s_cmp_ge_u32 s3, s33
	s_cselect_b32 s7, s4, s2
	s_and_b64 vcc, exec, s[0:1]
	s_mul_i32 s0, s7, s33
	s_sub_i32 s0, s6, s0
	s_lshl_b32 s0, s0, 2
	s_waitcnt lgkmcnt(0)
	s_mul_i32 s1, s17, s0
	s_mul_hi_u32 s3, s16, s0
	s_mul_i32 s4, s0, s26
	s_mul_i32 s2, s16, s0
	s_add_i32 s3, s3, s1
	s_cbranch_vccz .LBB0_9
; %bb.1:
	v_mov_b32_e32 v1, s10
	s_mov_b32 s34, 3
	v_mov_b32_e32 v2, s11
.LBB0_2:                                ; =>This Inner Loop Header: Depth=1
	s_lshl_b64 s[36:37], s[36:37], 3
	s_add_u32 s0, s12, s36
	s_addc_u32 s1, s13, s37
	s_load_dwordx2 s[38:39], s[0:1], 0x0
	s_waitcnt lgkmcnt(0)
	s_mov_b32 s31, s39
	s_cmp_lg_u64 s[30:31], 0
	s_cbranch_scc0 .LBB0_7
; %bb.3:                                ;   in Loop: Header=BB0_2 Depth=1
	v_cvt_f32_u32_e32 v3, s38
	v_cvt_f32_u32_e32 v4, s39
	s_sub_u32 s0, 0, s38
	s_subb_u32 s1, 0, s39
	v_mac_f32_e32 v3, 0x4f800000, v4
	v_rcp_f32_e32 v3, v3
	v_mul_f32_e32 v3, 0x5f7ffffc, v3
	v_mul_f32_e32 v4, 0x2f800000, v3
	v_trunc_f32_e32 v4, v4
	v_mac_f32_e32 v3, 0xcf800000, v4
	v_cvt_u32_f32_e32 v4, v4
	v_cvt_u32_f32_e32 v3, v3
	v_readfirstlane_b32 s19, v4
	v_readfirstlane_b32 s27, v3
	s_mul_i32 s31, s0, s19
	s_mul_hi_u32 s40, s0, s27
	s_mul_i32 s35, s1, s27
	s_add_i32 s31, s40, s31
	s_mul_i32 s41, s0, s27
	s_add_i32 s31, s31, s35
	s_mul_hi_u32 s35, s27, s31
	s_mul_i32 s40, s27, s31
	s_mul_hi_u32 s27, s27, s41
	s_add_u32 s27, s27, s40
	s_addc_u32 s35, 0, s35
	s_mul_hi_u32 s42, s19, s41
	s_mul_i32 s41, s19, s41
	s_add_u32 s27, s27, s41
	s_mul_hi_u32 s40, s19, s31
	s_addc_u32 s27, s35, s42
	s_addc_u32 s35, s40, 0
	s_mul_i32 s31, s19, s31
	s_add_u32 s27, s27, s31
	s_addc_u32 s31, 0, s35
	v_add_co_u32_e32 v3, vcc, s27, v3
	s_cmp_lg_u64 vcc, 0
	s_addc_u32 s19, s19, s31
	v_readfirstlane_b32 s31, v3
	s_mul_i32 s27, s0, s19
	s_mul_hi_u32 s35, s0, s31
	s_add_i32 s27, s35, s27
	s_mul_i32 s1, s1, s31
	s_add_i32 s27, s27, s1
	s_mul_i32 s0, s0, s31
	s_mul_hi_u32 s35, s19, s0
	s_mul_i32 s40, s19, s0
	s_mul_i32 s42, s31, s27
	s_mul_hi_u32 s0, s31, s0
	s_mul_hi_u32 s41, s31, s27
	s_add_u32 s0, s0, s42
	s_addc_u32 s31, 0, s41
	s_add_u32 s0, s0, s40
	s_mul_hi_u32 s1, s19, s27
	s_addc_u32 s0, s31, s35
	s_addc_u32 s1, s1, 0
	s_mul_i32 s27, s19, s27
	s_add_u32 s0, s0, s27
	s_addc_u32 s1, 0, s1
	v_add_co_u32_e32 v3, vcc, s0, v3
	s_cmp_lg_u64 vcc, 0
	s_addc_u32 s0, s19, s1
	v_readfirstlane_b32 s19, v3
	s_mul_hi_u32 s1, s7, s0
	s_mul_i32 s0, s7, s0
	s_mul_hi_u32 s19, s7, s19
	s_add_u32 s0, s19, s0
	s_addc_u32 s19, 0, s1
	s_mul_i32 s0, s39, s19
	s_mul_hi_u32 s1, s38, s19
	s_add_i32 s27, s1, s0
	s_mul_i32 s1, s38, s19
	v_mov_b32_e32 v3, s1
	s_sub_i32 s0, 0, s27
	v_sub_co_u32_e32 v3, vcc, s7, v3
	s_cmp_lg_u64 vcc, 0
	s_subb_u32 s31, s0, s39
	v_subrev_co_u32_e64 v4, s[0:1], s38, v3
	s_cmp_lg_u64 s[0:1], 0
	s_subb_u32 s0, s31, 0
	s_cmp_ge_u32 s0, s39
	v_readfirstlane_b32 s31, v4
	s_cselect_b32 s1, -1, 0
	s_cmp_ge_u32 s31, s38
	s_cselect_b32 s31, -1, 0
	s_cmp_eq_u32 s0, s39
	s_cselect_b32 s0, s31, s1
	s_add_u32 s1, s19, 1
	s_addc_u32 s31, 0, 0
	s_add_u32 s35, s19, 2
	s_addc_u32 s40, 0, 0
	s_cmp_lg_u32 s0, 0
	s_cselect_b32 s0, s35, s1
	s_cselect_b32 s1, s40, s31
	s_cmp_lg_u64 vcc, 0
	s_subb_u32 s27, 0, s27
	s_cmp_ge_u32 s27, s39
	v_readfirstlane_b32 s35, v3
	s_cselect_b32 s31, -1, 0
	s_cmp_ge_u32 s35, s38
	s_cselect_b32 s35, -1, 0
	s_cmp_eq_u32 s27, s39
	s_cselect_b32 s27, s35, s31
	s_cmp_lg_u32 s27, 0
	s_cselect_b32 s1, s1, 0
	s_cselect_b32 s0, s0, s19
	s_cbranch_execnz .LBB0_5
.LBB0_4:                                ;   in Loop: Header=BB0_2 Depth=1
	v_cvt_f32_u32_e32 v3, s38
	s_sub_i32 s0, 0, s38
	v_rcp_iflag_f32_e32 v3, v3
	v_mul_f32_e32 v3, 0x4f7ffffe, v3
	v_cvt_u32_f32_e32 v3, v3
	v_readfirstlane_b32 s1, v3
	s_mul_i32 s0, s0, s1
	s_mul_hi_u32 s0, s1, s0
	s_add_i32 s1, s1, s0
	s_mul_hi_u32 s0, s7, s1
	s_mul_i32 s19, s0, s38
	s_sub_i32 s19, s7, s19
	s_add_i32 s1, s0, 1
	s_sub_i32 s27, s19, s38
	s_cmp_ge_u32 s19, s38
	s_cselect_b32 s0, s1, s0
	s_cselect_b32 s19, s27, s19
	s_add_i32 s1, s0, 1
	s_cmp_ge_u32 s19, s38
	s_cselect_b32 s0, s1, s0
	s_mov_b32 s1, s30
.LBB0_5:                                ;   in Loop: Header=BB0_2 Depth=1
	s_mul_i32 s19, s0, s39
	s_mul_hi_u32 s27, s0, s38
	s_add_i32 s19, s27, s19
	s_mul_i32 s1, s1, s38
	s_add_i32 s19, s19, s1
	s_mul_i32 s1, s0, s38
	s_sub_u32 s1, s7, s1
	s_subb_u32 s7, 0, s19
	s_add_u32 s40, s14, s36
	s_addc_u32 s41, s15, s37
	s_load_dwordx2 s[40:41], s[40:41], 0x0
	s_mov_b32 s35, s30
	v_cmp_ge_u64_e32 vcc, s[34:35], v[1:2]
	s_mul_i32 s33, s33, s38
	s_waitcnt lgkmcnt(0)
	s_mul_i32 s19, s40, s7
	s_mul_hi_u32 s27, s40, s1
	s_add_i32 s19, s27, s19
	s_mul_i32 s27, s41, s1
	s_add_i32 s19, s19, s27
	s_mul_i32 s27, s40, s1
	s_add_u32 s4, s27, s4
	s_addc_u32 s5, s19, s5
	s_add_u32 s36, s28, s36
	s_addc_u32 s37, s29, s37
	s_load_dwordx2 s[36:37], s[36:37], 0x0
	s_waitcnt lgkmcnt(0)
	s_mul_i32 s7, s36, s7
	s_mul_hi_u32 s19, s36, s1
	s_add_i32 s7, s19, s7
	s_mul_i32 s19, s37, s1
	s_add_i32 s7, s7, s19
	s_mul_i32 s1, s36, s1
	s_add_u32 s2, s1, s2
	s_addc_u32 s3, s7, s3
	s_mov_b64 s[36:37], s[34:35]
	s_add_i32 s34, s34, 1
	s_cbranch_vccnz .LBB0_8
; %bb.6:                                ;   in Loop: Header=BB0_2 Depth=1
	s_mov_b32 s7, s0
	s_branch .LBB0_2
.LBB0_7:                                ;   in Loop: Header=BB0_2 Depth=1
                                        ; implicit-def: $sgpr0_sgpr1
	s_branch .LBB0_4
.LBB0_8:
	v_cvt_f32_u32_e32 v1, s33
	s_sub_i32 s0, 0, s33
	v_rcp_iflag_f32_e32 v1, v1
	v_mul_f32_e32 v1, 0x4f7ffffe, v1
	v_cvt_u32_f32_e32 v1, v1
	v_readfirstlane_b32 s1, v1
	s_mul_i32 s0, s0, s1
	s_mul_hi_u32 s0, s1, s0
	s_add_i32 s1, s1, s0
	s_mul_hi_u32 s0, s6, s1
	s_mul_i32 s1, s0, s33
	s_sub_i32 s1, s6, s1
	s_add_i32 s7, s0, 1
	s_sub_i32 s6, s1, s33
	s_cmp_ge_u32 s1, s33
	s_cselect_b32 s0, s7, s0
	s_cselect_b32 s1, s6, s1
	s_add_i32 s6, s0, 1
	s_cmp_ge_u32 s1, s33
	s_cselect_b32 s7, s6, s0
.LBB0_9:
	s_lshl_b64 s[0:1], s[10:11], 3
	s_add_u32 s10, s14, s0
	s_addc_u32 s11, s15, s1
	v_mul_u32_u24_e32 v1, 0x290, v0
	s_load_dwordx2 s[10:11], s[10:11], 0x0
	v_lshrrev_b32_e32 v9, 16, v1
	v_mul_lo_u16_e32 v1, 0x64, v9
	v_sub_u16_e32 v10, v0, v1
	v_mad_u64_u32 v[1:2], s[12:13], s24, v10, 0
	s_waitcnt lgkmcnt(0)
	s_mul_i32 s6, s11, s7
	s_mul_hi_u32 s11, s10, s7
	s_add_i32 s11, s11, s6
	v_mad_u64_u32 v[2:3], s[12:13], s25, v10, v[2:3]
	s_mul_i32 s10, s10, s7
	s_add_u32 s0, s28, s0
	s_addc_u32 s1, s29, s1
	s_lshl_b64 s[10:11], s[10:11], 2
	s_add_u32 s6, s20, s10
	v_mul_lo_u32 v3, s26, v9
	s_addc_u32 s10, s21, s11
	s_lshl_b64 s[4:5], s[4:5], 2
	s_add_u32 s4, s6, s4
	v_lshlrev_b64 v[1:2], 2, v[1:2]
	s_addc_u32 s5, s10, s5
	v_mov_b32_e32 v4, 0
	v_mov_b32_e32 v5, s5
	v_add_co_u32_e32 v11, vcc, s4, v1
	v_addc_co_u32_e32 v12, vcc, v5, v2, vcc
	v_lshlrev_b64 v[1:2], 2, v[3:4]
	v_add_u32_e32 v3, s26, v3
	v_add_co_u32_e32 v1, vcc, v11, v1
	v_lshlrev_b64 v[5:6], 2, v[3:4]
	v_addc_co_u32_e32 v2, vcc, v12, v2, vcc
	v_add_u32_e32 v3, s26, v3
	v_add_co_u32_e32 v5, vcc, v11, v5
	v_lshlrev_b64 v[7:8], 2, v[3:4]
	v_addc_co_u32_e32 v6, vcc, v12, v6, vcc
	;; [unrolled: 4-line block ×3, first 2 shown]
	v_add_co_u32_e32 v3, vcc, v11, v3
	v_addc_co_u32_e32 v4, vcc, v12, v4, vcc
	global_load_dword v11, v[1:2], off
	global_load_dword v12, v[5:6], off
	;; [unrolled: 1-line block ×4, first 2 shown]
	v_mul_u32_u24_e32 v1, 0xa3e, v0
	v_mov_b32_e32 v2, 3
	v_mov_b32_e32 v3, 25
	v_and_b32_sdwa v2, v1, v2 dst_sel:DWORD dst_unused:UNUSED_PAD src0_sel:WORD_1 src1_sel:DWORD
	v_mul_lo_u16_sdwa v1, v1, v3 dst_sel:DWORD dst_unused:UNUSED_PAD src0_sel:WORD_1 src1_sel:DWORD
	v_mul_lo_u16_e32 v2, 0x64, v2
	v_sub_u16_e32 v7, v0, v1
	v_mul_u32_u24_e32 v4, 0x190, v9
	v_lshlrev_b32_e32 v8, 2, v2
	v_lshlrev_b32_e32 v1, 2, v7
	;; [unrolled: 1-line block ×3, first 2 shown]
	v_add3_u32 v6, 0, v8, v1
	v_add_u32_e32 v3, 0, v1
	v_add3_u32 v1, 0, v4, v2
	v_add_u32_e32 v2, 0x200, v1
	v_add_u32_e32 v5, v3, v8
	s_load_dwordx2 s[0:1], s[0:1], 0x0
	s_movk_i32 s4, 0x3b9c
	s_movk_i32 s6, 0x34f2
	;; [unrolled: 1-line block ×3, first 2 shown]
	v_cmp_gt_u16_e32 vcc, 20, v7
	s_waitcnt vmcnt(2)
	ds_write2_b32 v1, v11, v12 offset1:100
	s_waitcnt vmcnt(0)
	ds_write2_b32 v2, v13, v14 offset0:72 offset1:172
	s_waitcnt lgkmcnt(0)
	s_barrier
	ds_read_b32 v4, v6
	ds_read2_b32 v[1:2], v5 offset0:20 offset1:40
	ds_read2_b32 v[12:13], v5 offset0:60 offset1:80
	s_waitcnt lgkmcnt(0)
	s_barrier
	v_pk_add_f16 v9, v4, v1
	v_pk_add_f16 v11, v1, v13
	v_pk_add_f16 v15, v2, v1 neg_lo:[0,1] neg_hi:[0,1]
	v_pk_add_f16 v16, v12, v13 neg_lo:[0,1] neg_hi:[0,1]
	;; [unrolled: 1-line block ×4, first 2 shown]
	v_pk_add_f16 v17, v2, v12
	v_pk_add_f16 v1, v1, v2 neg_lo:[0,1] neg_hi:[0,1]
	v_pk_add_f16 v2, v9, v2
	v_pk_fma_f16 v9, v11, 0.5, v4 op_sel_hi:[1,0,1] neg_lo:[1,0,0] neg_hi:[1,0,0]
	v_pk_add_f16 v11, v15, v16
	v_pk_add_f16 v2, v2, v12
	v_pk_fma_f16 v15, v14, s4, v9 op_sel:[0,0,1] op_sel_hi:[1,0,0]
	v_pk_mul_f16 v16, v11, s6 op_sel_hi:[1,0]
	v_pk_fma_f16 v11, v14, s4, v9 op_sel:[0,0,1] op_sel_hi:[1,0,0] neg_lo:[1,0,0] neg_hi:[1,0,0]
	v_pk_fma_f16 v4, v17, 0.5, v4 op_sel_hi:[1,0,1] neg_lo:[1,0,0] neg_hi:[1,0,0]
	v_pk_add_f16 v9, v2, v13
	v_pk_fma_f16 v2, v10, s5, v15 op_sel_hi:[1,0,1] neg_lo:[1,0,0] neg_hi:[1,0,0]
	v_pk_fma_f16 v15, v10, s5, v11 op_sel_hi:[1,0,1]
	v_pk_add_f16 v12, v13, v12 neg_lo:[0,1] neg_hi:[0,1]
	v_pk_mul_f16 v10, v10, s4 op_sel_hi:[1,0]
	v_pk_add_f16 v13, v1, v12
	v_pk_add_f16 v1, v4, v10 op_sel:[0,1] op_sel_hi:[1,0] neg_lo:[0,1] neg_hi:[0,1]
	v_pk_mul_f16 v14, v14, s5 op_sel_hi:[1,0]
	v_pk_add_f16 v4, v4, v10 op_sel:[0,1] op_sel_hi:[1,0]
	v_pk_add_f16 v17, v1, v14 op_sel:[0,1] op_sel_hi:[1,0] neg_lo:[0,1] neg_hi:[0,1]
	v_pk_add_f16 v10, v4, v14 op_sel:[0,1] op_sel_hi:[1,0]
	s_mov_b32 s4, 0xffff
	v_pk_add_f16 v11, v16, v2 op_sel:[1,0] op_sel_hi:[0,1]
	v_pk_mul_f16 v12, v13, s6 op_sel_hi:[1,0]
	v_bfi_b32 v10, s4, v10, v17
	v_add_f16_sdwa v4, v14, v4 dst_sel:DWORD dst_unused:UNUSED_PAD src0_sel:DWORD src1_sel:WORD_1
	v_lshrrev_b32_e32 v2, 16, v11
	v_add_f16_e32 v1, v12, v17
	v_add_f16_sdwa v12, v12, v4 dst_sel:DWORD dst_unused:UNUSED_PAD src0_sel:WORD_1 src1_sel:DWORD
	v_pk_fma_f16 v4, v13, s6, v10 op_sel_hi:[1,0,1]
	v_pk_add_f16 v13, v16, v15 op_sel:[1,0] op_sel_hi:[0,1]
	s_and_saveexec_b64 s[4:5], vcc
	s_cbranch_execz .LBB0_11
; %bb.10:
	v_lshlrev_b32_e32 v10, 4, v7
	s_mov_b32 s6, 0x5040100
	v_add3_u32 v3, v3, v10, v8
	v_perm_b32 v10, v12, v1, s6
	ds_write2_b32 v3, v9, v10 offset1:1
	v_perm_b32 v10, v13, v2, s6
	v_alignbit_b32 v14, v11, v13, 16
	ds_write2_b32 v3, v10, v14 offset0:2 offset1:3
	ds_write_b32 v3, v4 offset:16
.LBB0_11:
	s_or_b64 exec, exec, s[4:5]
	v_lshrrev_b32_e32 v10, 16, v9
	v_lshrrev_b32_e32 v3, 16, v13
	;; [unrolled: 1-line block ×3, first 2 shown]
	s_waitcnt lgkmcnt(0)
	s_barrier
	s_and_saveexec_b64 s[4:5], vcc
	s_cbranch_execz .LBB0_13
; %bb.12:
	ds_read2_b32 v[1:2], v5 offset0:20 offset1:40
	ds_read2_b32 v[3:4], v5 offset0:60 offset1:80
	ds_read_b32 v9, v6
	ds_read_u16 v10, v6 offset:2
	s_waitcnt lgkmcnt(3)
	v_lshrrev_b32_e32 v12, 16, v1
	v_lshrrev_b32_e32 v13, 16, v2
	s_waitcnt lgkmcnt(2)
	v_lshrrev_b32_e32 v11, 16, v3
	v_lshrrev_b32_e32 v14, 16, v4
.LBB0_13:
	s_or_b64 exec, exec, s[4:5]
	s_waitcnt lgkmcnt(0)
	s_barrier
	s_and_saveexec_b64 s[4:5], vcc
	s_cbranch_execz .LBB0_15
; %bb.14:
	s_movk_i32 s6, 0xcd
	v_mul_lo_u16_sdwa v15, v7, s6 dst_sel:DWORD dst_unused:UNUSED_PAD src0_sel:BYTE_0 src1_sel:DWORD
	v_lshrrev_b16_e32 v19, 10, v15
	v_mul_lo_u16_e32 v15, 5, v19
	v_sub_u16_e32 v15, v7, v15
	v_and_b32_e32 v20, 0xff, v15
	v_lshlrev_b32_e32 v15, 4, v20
	global_load_dwordx4 v[15:18], v15, s[8:9]
	v_mov_b32_e32 v21, 2
	v_mul_lo_u16_e32 v19, 25, v19
	v_lshlrev_b32_sdwa v19, v21, v19 dst_sel:DWORD dst_unused:UNUSED_PAD src0_sel:DWORD src1_sel:BYTE_0
	v_lshl_add_u32 v20, v20, 2, 0
	v_add3_u32 v8, v20, v19, v8
	s_movk_i32 s6, 0x3b9c
	s_mov_b32 s12, 0xbb9c
	s_mov_b32 s10, 0xb8b4
	s_movk_i32 s13, 0x38b4
	s_movk_i32 s11, 0x34f2
	s_waitcnt vmcnt(0)
	v_mul_f16_sdwa v19, v2, v16 dst_sel:DWORD dst_unused:UNUSED_PAD src0_sel:DWORD src1_sel:WORD_1
	v_mul_f16_sdwa v20, v1, v15 dst_sel:DWORD dst_unused:UNUSED_PAD src0_sel:DWORD src1_sel:WORD_1
	;; [unrolled: 1-line block ×5, first 2 shown]
	v_fma_f16 v13, v13, v16, -v19
	v_mul_f16_sdwa v19, v11, v17 dst_sel:DWORD dst_unused:UNUSED_PAD src0_sel:DWORD src1_sel:WORD_1
	v_fma_f16 v20, v12, v15, -v20
	v_mul_f16_sdwa v12, v12, v15 dst_sel:DWORD dst_unused:UNUSED_PAD src0_sel:DWORD src1_sel:WORD_1
	;; [unrolled: 2-line block ×3, first 2 shown]
	v_fma_f16 v14, v14, v18, -v22
	v_fma_f16 v2, v2, v16, v23
	v_fma_f16 v3, v3, v17, v19
	;; [unrolled: 1-line block ×4, first 2 shown]
	v_sub_f16_e32 v12, v13, v20
	v_sub_f16_e32 v15, v11, v14
	;; [unrolled: 1-line block ×5, first 2 shown]
	v_add_f16_e32 v12, v12, v15
	v_sub_f16_e32 v15, v14, v11
	v_add_f16_e32 v19, v19, v21
	v_sub_f16_e32 v21, v1, v2
	v_add_f16_e32 v15, v23, v15
	v_sub_f16_e32 v23, v4, v3
	v_add_f16_e32 v17, v20, v14
	v_add_f16_e32 v22, v1, v4
	;; [unrolled: 1-line block ×4, first 2 shown]
	v_sub_f16_e32 v16, v2, v3
	v_sub_f16_e32 v18, v1, v4
	v_add_f16_e32 v1, v9, v1
	v_fma_f16 v22, v22, -0.5, v9
	v_fma_f16 v9, v23, -0.5, v9
	v_add_f16_e32 v23, v13, v11
	v_fma_f16 v17, v17, -0.5, v10
	v_fma_f16 v23, v23, -0.5, v10
	v_add_f16_e32 v10, v10, v20
	v_sub_f16_e32 v20, v20, v14
	v_add_f16_e32 v1, v1, v2
	v_fma_f16 v2, v16, s6, v17
	v_fma_f16 v17, v16, s12, v17
	v_add_f16_e32 v10, v10, v13
	v_sub_f16_e32 v13, v13, v11
	v_add_f16_e32 v1, v1, v3
	v_fma_f16 v3, v18, s6, v23
	v_fma_f16 v23, v18, s12, v23
	v_fma_f16 v2, v18, s10, v2
	v_fma_f16 v17, v18, s13, v17
	v_fma_f16 v18, v20, s12, v9
	v_add_f16_e32 v10, v10, v11
	v_fma_f16 v11, v13, s12, v22
	v_fma_f16 v22, v13, s6, v22
	;; [unrolled: 1-line block ×7, first 2 shown]
	v_add_f16_e32 v10, v10, v14
	v_add_f16_e32 v1, v1, v4
	v_fma_f16 v4, v16, s10, v23
	v_fma_f16 v9, v13, s13, v9
	;; [unrolled: 1-line block ×10, first 2 shown]
	v_pack_b32_f16 v1, v1, v10
	v_pack_b32_f16 v3, v14, v3
	;; [unrolled: 1-line block ×4, first 2 shown]
	ds_write2_b32 v8, v1, v3 offset1:5
	ds_write2_b32 v8, v10, v2 offset0:10 offset1:15
	v_pack_b32_f16 v1, v9, v4
	ds_write_b32 v8, v1 offset:80
.LBB0_15:
	s_or_b64 exec, exec, s[4:5]
	v_mul_u32_u24_e32 v1, 3, v7
	v_lshlrev_b32_e32 v1, 2, v1
	s_waitcnt lgkmcnt(0)
	s_barrier
	global_load_dwordx3 v[1:3], v1, s[8:9] offset:80
	s_mul_i32 s1, s1, s7
	s_mul_hi_u32 s4, s0, s7
	v_and_b32_e32 v15, 3, v0
	s_add_i32 s1, s4, s1
	v_mad_u64_u32 v[11:12], s[4:5], s16, v15, 0
	s_mul_i32 s0, s0, s7
	v_lshrrev_b32_e32 v9, 2, v0
	v_and_b32_e32 v0, 0x7c, v0
	v_mul_u32_u24_e32 v13, 0x190, v15
	s_lshl_b64 s[0:1], s[0:1], 2
	v_add3_u32 v18, 0, v13, v0
	s_add_u32 s4, s22, s0
	v_mov_b32_e32 v0, v12
	s_addc_u32 s5, s23, s1
	s_lshl_b64 s[0:1], s[2:3], 2
	ds_read2_b32 v[7:8], v5 offset0:25 offset1:50
	ds_read_b32 v4, v6
	ds_read_b32 v6, v5 offset:300
	s_add_u32 s0, s4, s0
	s_addc_u32 s1, s5, s1
	s_waitcnt lgkmcnt(2)
	v_lshrrev_b32_e32 v19, 16, v7
	v_lshrrev_b32_e32 v20, 16, v8
	s_waitcnt lgkmcnt(0)
	v_lshrrev_b32_e32 v21, 16, v6
	v_lshrrev_b32_e32 v22, 16, v4
	v_mul_lo_u32 v9, v9, s18
	v_mov_b32_e32 v10, 0
	s_waitcnt vmcnt(0)
	s_barrier
	s_mul_i32 s6, s18, 25
	v_lshlrev_b64 v[13:14], 2, v[9:10]
	v_add_u32_e32 v9, s6, v9
	v_mad_u64_u32 v[15:16], s[2:3], s17, v15, v[0:1]
	v_mov_b32_e32 v0, s1
	v_mul_f16_sdwa v23, v2, v20 dst_sel:DWORD dst_unused:UNUSED_PAD src0_sel:WORD_1 src1_sel:DWORD
	v_mov_b32_e32 v12, v15
	v_lshlrev_b64 v[11:12], 2, v[11:12]
	v_mul_f16_sdwa v15, v1, v7 dst_sel:DWORD dst_unused:UNUSED_PAD src0_sel:WORD_1 src1_sel:DWORD
	v_add_co_u32_e32 v11, vcc, s0, v11
	v_addc_co_u32_e32 v12, vcc, v0, v12, vcc
	v_mul_f16_sdwa v0, v1, v19 dst_sel:DWORD dst_unused:UNUSED_PAD src0_sel:WORD_1 src1_sel:DWORD
	v_mul_f16_sdwa v24, v2, v8 dst_sel:DWORD dst_unused:UNUSED_PAD src0_sel:WORD_1 src1_sel:DWORD
	;; [unrolled: 1-line block ×4, first 2 shown]
	v_fma_f16 v0, v1, v7, v0
	v_fma_f16 v1, v1, v19, -v15
	v_fma_f16 v7, v2, v8, v23
	v_fma_f16 v2, v2, v20, -v24
	;; [unrolled: 2-line block ×3, first 2 shown]
	v_sub_f16_e32 v7, v4, v7
	v_sub_f16_e32 v2, v22, v2
	;; [unrolled: 1-line block ×4, first 2 shown]
	v_fma_f16 v4, v4, 2.0, -v7
	v_fma_f16 v8, v22, 2.0, -v2
	;; [unrolled: 1-line block ×4, first 2 shown]
	v_add_f16_e32 v3, v7, v3
	v_sub_f16_e32 v6, v2, v6
	v_sub_f16_e32 v0, v4, v0
	;; [unrolled: 1-line block ×3, first 2 shown]
	v_fma_f16 v7, v7, 2.0, -v3
	v_fma_f16 v2, v2, 2.0, -v6
	v_pack_b32_f16 v3, v3, v6
	v_fma_f16 v4, v4, 2.0, -v0
	v_fma_f16 v6, v8, 2.0, -v1
	v_pack_b32_f16 v0, v0, v1
	v_pack_b32_f16 v1, v4, v6
	;; [unrolled: 1-line block ×3, first 2 shown]
	ds_write2_b32 v5, v0, v3 offset0:50 offset1:75
	ds_write2_b32 v5, v1, v2 offset1:25
	s_waitcnt lgkmcnt(0)
	s_barrier
	ds_read2_b32 v[0:1], v18 offset1:25
	v_lshlrev_b64 v[16:17], 2, v[9:10]
	v_add_co_u32_e32 v2, vcc, v11, v13
	v_addc_co_u32_e32 v3, vcc, v12, v14, vcc
	s_waitcnt lgkmcnt(0)
	global_store_dword v[2:3], v0, off
	v_add_co_u32_e32 v2, vcc, v11, v16
	v_addc_co_u32_e32 v3, vcc, v12, v17, vcc
	global_store_dword v[2:3], v1, off
	v_add_u32_e32 v9, s6, v9
	ds_read2_b32 v[0:1], v18 offset0:50 offset1:75
	v_lshlrev_b64 v[2:3], 2, v[9:10]
	v_add_u32_e32 v9, s6, v9
	v_add_co_u32_e32 v2, vcc, v11, v2
	v_addc_co_u32_e32 v3, vcc, v12, v3, vcc
	s_waitcnt lgkmcnt(0)
	global_store_dword v[2:3], v0, off
	v_lshlrev_b64 v[2:3], 2, v[9:10]
	v_add_co_u32_e32 v2, vcc, v11, v2
	v_addc_co_u32_e32 v3, vcc, v12, v3, vcc
	global_store_dword v[2:3], v1, off
	s_endpgm
	.section	.rodata,"a",@progbits
	.p2align	6, 0x0
	.amdhsa_kernel fft_rtc_back_len100_factors_5_5_4_wgs_100_tpt_25_half_op_CI_CI_sbrc_aligned
		.amdhsa_group_segment_fixed_size 0
		.amdhsa_private_segment_fixed_size 0
		.amdhsa_kernarg_size 104
		.amdhsa_user_sgpr_count 6
		.amdhsa_user_sgpr_private_segment_buffer 1
		.amdhsa_user_sgpr_dispatch_ptr 0
		.amdhsa_user_sgpr_queue_ptr 0
		.amdhsa_user_sgpr_kernarg_segment_ptr 1
		.amdhsa_user_sgpr_dispatch_id 0
		.amdhsa_user_sgpr_flat_scratch_init 0
		.amdhsa_user_sgpr_private_segment_size 0
		.amdhsa_uses_dynamic_stack 0
		.amdhsa_system_sgpr_private_segment_wavefront_offset 0
		.amdhsa_system_sgpr_workgroup_id_x 1
		.amdhsa_system_sgpr_workgroup_id_y 0
		.amdhsa_system_sgpr_workgroup_id_z 0
		.amdhsa_system_sgpr_workgroup_info 0
		.amdhsa_system_vgpr_workitem_id 0
		.amdhsa_next_free_vgpr 27
		.amdhsa_next_free_sgpr 43
		.amdhsa_reserve_vcc 1
		.amdhsa_reserve_flat_scratch 0
		.amdhsa_float_round_mode_32 0
		.amdhsa_float_round_mode_16_64 0
		.amdhsa_float_denorm_mode_32 3
		.amdhsa_float_denorm_mode_16_64 3
		.amdhsa_dx10_clamp 1
		.amdhsa_ieee_mode 1
		.amdhsa_fp16_overflow 0
		.amdhsa_exception_fp_ieee_invalid_op 0
		.amdhsa_exception_fp_denorm_src 0
		.amdhsa_exception_fp_ieee_div_zero 0
		.amdhsa_exception_fp_ieee_overflow 0
		.amdhsa_exception_fp_ieee_underflow 0
		.amdhsa_exception_fp_ieee_inexact 0
		.amdhsa_exception_int_div_zero 0
	.end_amdhsa_kernel
	.text
.Lfunc_end0:
	.size	fft_rtc_back_len100_factors_5_5_4_wgs_100_tpt_25_half_op_CI_CI_sbrc_aligned, .Lfunc_end0-fft_rtc_back_len100_factors_5_5_4_wgs_100_tpt_25_half_op_CI_CI_sbrc_aligned
                                        ; -- End function
	.section	.AMDGPU.csdata,"",@progbits
; Kernel info:
; codeLenInByte = 3196
; NumSgprs: 47
; NumVgprs: 27
; ScratchSize: 0
; MemoryBound: 0
; FloatMode: 240
; IeeeMode: 1
; LDSByteSize: 0 bytes/workgroup (compile time only)
; SGPRBlocks: 5
; VGPRBlocks: 6
; NumSGPRsForWavesPerEU: 47
; NumVGPRsForWavesPerEU: 27
; Occupancy: 8
; WaveLimiterHint : 1
; COMPUTE_PGM_RSRC2:SCRATCH_EN: 0
; COMPUTE_PGM_RSRC2:USER_SGPR: 6
; COMPUTE_PGM_RSRC2:TRAP_HANDLER: 0
; COMPUTE_PGM_RSRC2:TGID_X_EN: 1
; COMPUTE_PGM_RSRC2:TGID_Y_EN: 0
; COMPUTE_PGM_RSRC2:TGID_Z_EN: 0
; COMPUTE_PGM_RSRC2:TIDIG_COMP_CNT: 0
	.type	__hip_cuid_5173863337ab0699,@object ; @__hip_cuid_5173863337ab0699
	.section	.bss,"aw",@nobits
	.globl	__hip_cuid_5173863337ab0699
__hip_cuid_5173863337ab0699:
	.byte	0                               ; 0x0
	.size	__hip_cuid_5173863337ab0699, 1

	.ident	"AMD clang version 19.0.0git (https://github.com/RadeonOpenCompute/llvm-project roc-6.4.0 25133 c7fe45cf4b819c5991fe208aaa96edf142730f1d)"
	.section	".note.GNU-stack","",@progbits
	.addrsig
	.addrsig_sym __hip_cuid_5173863337ab0699
	.amdgpu_metadata
---
amdhsa.kernels:
  - .args:
      - .actual_access:  read_only
        .address_space:  global
        .offset:         0
        .size:           8
        .value_kind:     global_buffer
      - .offset:         8
        .size:           8
        .value_kind:     by_value
      - .actual_access:  read_only
        .address_space:  global
        .offset:         16
        .size:           8
        .value_kind:     global_buffer
      - .actual_access:  read_only
        .address_space:  global
        .offset:         24
        .size:           8
        .value_kind:     global_buffer
      - .actual_access:  read_only
        .address_space:  global
        .offset:         32
        .size:           8
        .value_kind:     global_buffer
      - .offset:         40
        .size:           8
        .value_kind:     by_value
      - .actual_access:  read_only
        .address_space:  global
        .offset:         48
        .size:           8
        .value_kind:     global_buffer
      - .actual_access:  read_only
        .address_space:  global
        .offset:         56
        .size:           8
        .value_kind:     global_buffer
      - .offset:         64
        .size:           4
        .value_kind:     by_value
      - .actual_access:  read_only
        .address_space:  global
        .offset:         72
        .size:           8
        .value_kind:     global_buffer
      - .actual_access:  read_only
        .address_space:  global
        .offset:         80
        .size:           8
        .value_kind:     global_buffer
      - .actual_access:  read_only
        .address_space:  global
        .offset:         88
        .size:           8
        .value_kind:     global_buffer
      - .actual_access:  write_only
        .address_space:  global
        .offset:         96
        .size:           8
        .value_kind:     global_buffer
    .group_segment_fixed_size: 0
    .kernarg_segment_align: 8
    .kernarg_segment_size: 104
    .language:       OpenCL C
    .language_version:
      - 2
      - 0
    .max_flat_workgroup_size: 100
    .name:           fft_rtc_back_len100_factors_5_5_4_wgs_100_tpt_25_half_op_CI_CI_sbrc_aligned
    .private_segment_fixed_size: 0
    .sgpr_count:     47
    .sgpr_spill_count: 0
    .symbol:         fft_rtc_back_len100_factors_5_5_4_wgs_100_tpt_25_half_op_CI_CI_sbrc_aligned.kd
    .uniform_work_group_size: 1
    .uses_dynamic_stack: false
    .vgpr_count:     27
    .vgpr_spill_count: 0
    .wavefront_size: 64
amdhsa.target:   amdgcn-amd-amdhsa--gfx906
amdhsa.version:
  - 1
  - 2
...

	.end_amdgpu_metadata
